;; amdgpu-corpus repo=ROCm/rocFFT kind=compiled arch=gfx950 opt=O3
	.text
	.amdgcn_target "amdgcn-amd-amdhsa--gfx950"
	.amdhsa_code_object_version 6
	.protected	fft_rtc_fwd_len280_factors_8_5_7_wgs_392_tpt_56_sp_ip_CI_sbcc_twdbase6_3step_dirReg_intrinsicReadWrite ; -- Begin function fft_rtc_fwd_len280_factors_8_5_7_wgs_392_tpt_56_sp_ip_CI_sbcc_twdbase6_3step_dirReg_intrinsicReadWrite
	.globl	fft_rtc_fwd_len280_factors_8_5_7_wgs_392_tpt_56_sp_ip_CI_sbcc_twdbase6_3step_dirReg_intrinsicReadWrite
	.p2align	8
	.type	fft_rtc_fwd_len280_factors_8_5_7_wgs_392_tpt_56_sp_ip_CI_sbcc_twdbase6_3step_dirReg_intrinsicReadWrite,@function
fft_rtc_fwd_len280_factors_8_5_7_wgs_392_tpt_56_sp_ip_CI_sbcc_twdbase6_3step_dirReg_intrinsicReadWrite: ; @fft_rtc_fwd_len280_factors_8_5_7_wgs_392_tpt_56_sp_ip_CI_sbcc_twdbase6_3step_dirReg_intrinsicReadWrite
; %bb.0:
	s_load_dwordx8 s[4:11], s[0:1], 0x8
	s_movk_i32 s3, 0xc0
	v_cmp_gt_u32_e32 vcc, s3, v0
	s_and_saveexec_b64 s[12:13], vcc
	s_cbranch_execz .LBB0_2
; %bb.1:
	v_lshlrev_b32_e32 v1, 3, v0
	s_waitcnt lgkmcnt(0)
	global_load_dwordx2 v[2:3], v1, s[4:5]
	v_add_u32_e32 v1, 0, v1
	s_waitcnt vmcnt(0)
	ds_write_b64 v1, v[2:3] offset:15680
.LBB0_2:
	s_or_b64 exec, exec, s[12:13]
	s_waitcnt lgkmcnt(0)
	s_load_dwordx2 s[18:19], s[8:9], 0x8
	s_mov_b32 s3, 0
	s_mov_b64 s[24:25], 0
	s_waitcnt lgkmcnt(0)
	s_add_u32 s4, s18, -1
	s_addc_u32 s5, s19, -1
	s_add_u32 s12, 0, 0x92481000
	s_addc_u32 s13, 0, 0x64
	s_mul_hi_u32 s15, s12, -7
	s_add_i32 s13, s13, 0x249248c0
	s_sub_i32 s15, s15, s12
	s_mul_i32 s20, s13, -7
	s_mul_i32 s14, s12, -7
	s_add_i32 s15, s15, s20
	s_mul_hi_u32 s16, s13, s14
	s_mul_i32 s17, s13, s14
	s_mul_i32 s21, s12, s15
	s_mul_hi_u32 s14, s12, s14
	s_mul_hi_u32 s20, s12, s15
	s_add_u32 s14, s14, s21
	s_addc_u32 s20, 0, s20
	s_add_u32 s14, s14, s17
	s_mul_hi_u32 s21, s13, s15
	s_addc_u32 s14, s20, s16
	s_addc_u32 s16, s21, 0
	s_mul_i32 s15, s13, s15
	s_add_u32 s14, s14, s15
	v_mov_b32_e32 v1, s14
	s_addc_u32 s15, 0, s16
	v_add_co_u32_e32 v1, vcc, s12, v1
	s_cmp_lg_u64 vcc, 0
	s_addc_u32 s12, s13, s15
	v_readfirstlane_b32 s15, v1
	s_mul_i32 s14, s4, s12
	s_mul_hi_u32 s16, s4, s15
	s_mul_hi_u32 s13, s4, s12
	s_add_u32 s14, s16, s14
	s_addc_u32 s13, 0, s13
	s_mul_hi_u32 s17, s5, s15
	s_mul_i32 s15, s5, s15
	s_add_u32 s14, s14, s15
	s_mul_hi_u32 s16, s5, s12
	s_addc_u32 s13, s13, s17
	s_addc_u32 s14, s16, 0
	s_mul_i32 s12, s5, s12
	s_add_u32 s12, s13, s12
	s_addc_u32 s13, 0, s14
	s_add_u32 s14, s12, 1
	s_addc_u32 s15, s13, 0
	s_add_u32 s16, s12, 2
	s_mul_i32 s20, s13, 7
	s_mul_hi_u32 s21, s12, 7
	s_addc_u32 s17, s13, 0
	s_add_i32 s21, s21, s20
	s_mul_i32 s20, s12, 7
	v_mov_b32_e32 v1, s20
	v_sub_co_u32_e32 v1, vcc, s4, v1
	s_cmp_lg_u64 vcc, 0
	s_subb_u32 s4, s5, s21
	v_subrev_co_u32_e32 v2, vcc, 7, v1
	s_cmp_lg_u64 vcc, 0
	s_subb_u32 s5, s4, 0
	v_readfirstlane_b32 s20, v2
	s_cmp_gt_u32 s20, 6
	s_cselect_b32 s20, -1, 0
	s_cmp_eq_u32 s5, 0
	s_cselect_b32 s5, s20, -1
	s_cmp_lg_u32 s5, 0
	s_cselect_b32 s5, s16, s14
	s_cselect_b32 s14, s17, s15
	v_readfirstlane_b32 s15, v1
	s_cmp_gt_u32 s15, 6
	s_cselect_b32 s15, -1, 0
	s_cmp_eq_u32 s4, 0
	s_cselect_b32 s4, s15, -1
	s_cmp_lg_u32 s4, 0
	s_cselect_b32 s5, s5, s12
	s_cselect_b32 s4, s14, s13
	s_add_u32 s20, s5, 1
	s_addc_u32 s21, s4, 0
	v_mov_b64_e32 v[2:3], s[20:21]
	v_cmp_lt_u64_e32 vcc, s[2:3], v[2:3]
	s_cbranch_vccnz .LBB0_4
; %bb.3:
	v_cvt_f32_u32_e32 v1, s20
	s_sub_i32 s4, 0, s20
	s_mov_b32 s25, s3
	v_rcp_iflag_f32_e32 v1, v1
	s_nop 0
	v_mul_f32_e32 v1, 0x4f7ffffe, v1
	v_cvt_u32_f32_e32 v1, v1
	s_nop 0
	v_readfirstlane_b32 s5, v1
	s_mul_i32 s4, s4, s5
	s_mul_hi_u32 s4, s5, s4
	s_add_i32 s5, s5, s4
	s_mul_hi_u32 s4, s2, s5
	s_mul_i32 s12, s4, s20
	s_sub_i32 s12, s2, s12
	s_add_i32 s5, s4, 1
	s_sub_i32 s13, s12, s20
	s_cmp_ge_u32 s12, s20
	s_cselect_b32 s4, s5, s4
	s_cselect_b32 s12, s13, s12
	s_add_i32 s5, s4, 1
	s_cmp_ge_u32 s12, s20
	s_cselect_b32 s24, s5, s4
.LBB0_4:
	s_load_dwordx2 s[4:5], s[0:1], 0x58
	s_load_dwordx2 s[16:17], s[0:1], 0x0
	s_load_dwordx4 s[12:15], s[10:11], 0x0
	s_mul_i32 s0, s24, s21
	s_mul_hi_u32 s1, s24, s20
	s_add_i32 s1, s1, s0
	s_mul_i32 s0, s24, s20
	s_sub_u32 s0, s2, s0
	s_subb_u32 s1, 0, s1
	s_mul_i32 s1, s1, 7
	s_waitcnt lgkmcnt(0)
	s_mul_hi_u32 s13, s0, 7
	s_add_i32 s23, s13, s1
	s_mul_i32 s22, s0, 7
	s_mul_i32 s0, s14, s23
	s_mul_hi_u32 s1, s14, s22
	s_add_i32 s0, s1, s0
	s_mul_i32 s1, s15, s22
	s_add_i32 s15, s0, s1
	v_cmp_lt_u64_e64 s[0:1], s[6:7], 3
	s_mul_i32 s13, s14, s22
	s_and_b64 vcc, exec, s[0:1]
	s_cbranch_vccnz .LBB0_14
; %bb.5:
	s_add_u32 s26, s10, 16
	s_addc_u32 s27, s11, 0
	s_add_u32 s8, s8, 16
	s_addc_u32 s9, s9, 0
	s_mov_b64 s[28:29], 2
	s_mov_b32 s30, 0
	v_mov_b64_e32 v[2:3], s[6:7]
.LBB0_6:                                ; =>This Inner Loop Header: Depth=1
	s_load_dwordx2 s[34:35], s[8:9], 0x0
	s_waitcnt lgkmcnt(0)
	s_or_b64 s[0:1], s[24:25], s[34:35]
	s_mov_b32 s31, s1
	s_cmp_lg_u64 s[30:31], 0
	s_cbranch_scc0 .LBB0_11
; %bb.7:                                ;   in Loop: Header=BB0_6 Depth=1
	v_cvt_f32_u32_e32 v1, s34
	v_cvt_f32_u32_e32 v4, s35
	s_sub_u32 s0, 0, s34
	s_subb_u32 s1, 0, s35
	v_fmac_f32_e32 v1, 0x4f800000, v4
	v_rcp_f32_e32 v1, v1
	s_nop 0
	v_mul_f32_e32 v1, 0x5f7ffffc, v1
	v_mul_f32_e32 v4, 0x2f800000, v1
	v_trunc_f32_e32 v4, v4
	v_fmac_f32_e32 v1, 0xcf800000, v4
	v_cvt_u32_f32_e32 v4, v4
	v_cvt_u32_f32_e32 v1, v1
	v_readfirstlane_b32 s31, v4
	v_readfirstlane_b32 s33, v1
	s_mul_i32 s36, s0, s31
	s_mul_hi_u32 s38, s0, s33
	s_mul_i32 s37, s1, s33
	s_add_i32 s36, s38, s36
	s_mul_i32 s39, s0, s33
	s_add_i32 s36, s36, s37
	s_mul_hi_u32 s37, s33, s36
	s_mul_i32 s38, s33, s36
	s_mul_hi_u32 s33, s33, s39
	s_add_u32 s33, s33, s38
	s_addc_u32 s37, 0, s37
	s_mul_hi_u32 s40, s31, s39
	s_mul_i32 s39, s31, s39
	s_add_u32 s33, s33, s39
	s_mul_hi_u32 s38, s31, s36
	s_addc_u32 s33, s37, s40
	s_addc_u32 s37, s38, 0
	s_mul_i32 s36, s31, s36
	s_add_u32 s33, s33, s36
	s_addc_u32 s36, 0, s37
	v_add_co_u32_e32 v1, vcc, s33, v1
	s_cmp_lg_u64 vcc, 0
	s_addc_u32 s31, s31, s36
	v_readfirstlane_b32 s36, v1
	s_mul_i32 s33, s0, s31
	s_mul_hi_u32 s37, s0, s36
	s_add_i32 s33, s37, s33
	s_mul_i32 s1, s1, s36
	s_add_i32 s33, s33, s1
	s_mul_i32 s0, s0, s36
	s_mul_hi_u32 s37, s31, s0
	s_mul_i32 s38, s31, s0
	s_mul_i32 s40, s36, s33
	s_mul_hi_u32 s0, s36, s0
	s_mul_hi_u32 s39, s36, s33
	s_add_u32 s0, s0, s40
	s_addc_u32 s36, 0, s39
	s_add_u32 s0, s0, s38
	s_mul_hi_u32 s1, s31, s33
	s_addc_u32 s0, s36, s37
	s_addc_u32 s1, s1, 0
	s_mul_i32 s33, s31, s33
	s_add_u32 s0, s0, s33
	s_addc_u32 s1, 0, s1
	v_add_co_u32_e32 v1, vcc, s0, v1
	s_cmp_lg_u64 vcc, 0
	s_addc_u32 s0, s31, s1
	v_readfirstlane_b32 s33, v1
	s_mul_i32 s31, s24, s0
	s_mul_hi_u32 s36, s24, s33
	s_mul_hi_u32 s1, s24, s0
	s_add_u32 s31, s36, s31
	s_addc_u32 s1, 0, s1
	s_mul_hi_u32 s37, s25, s33
	s_mul_i32 s33, s25, s33
	s_add_u32 s31, s31, s33
	s_mul_hi_u32 s36, s25, s0
	s_addc_u32 s1, s1, s37
	s_addc_u32 s31, s36, 0
	s_mul_i32 s0, s25, s0
	s_add_u32 s33, s1, s0
	s_addc_u32 s31, 0, s31
	s_mul_i32 s0, s34, s31
	s_mul_hi_u32 s1, s34, s33
	s_add_i32 s0, s1, s0
	s_mul_i32 s1, s35, s33
	s_add_i32 s36, s0, s1
	s_mul_i32 s1, s34, s33
	v_mov_b32_e32 v1, s1
	s_sub_i32 s0, s25, s36
	v_sub_co_u32_e32 v1, vcc, s24, v1
	s_cmp_lg_u64 vcc, 0
	s_subb_u32 s37, s0, s35
	v_subrev_co_u32_e64 v4, s[0:1], s34, v1
	s_cmp_lg_u64 s[0:1], 0
	s_subb_u32 s0, s37, 0
	s_cmp_ge_u32 s0, s35
	v_readfirstlane_b32 s37, v4
	s_cselect_b32 s1, -1, 0
	s_cmp_ge_u32 s37, s34
	s_cselect_b32 s37, -1, 0
	s_cmp_eq_u32 s0, s35
	s_cselect_b32 s0, s37, s1
	s_add_u32 s1, s33, 1
	s_addc_u32 s37, s31, 0
	s_add_u32 s38, s33, 2
	s_addc_u32 s39, s31, 0
	s_cmp_lg_u32 s0, 0
	s_cselect_b32 s0, s38, s1
	s_cselect_b32 s1, s39, s37
	s_cmp_lg_u64 vcc, 0
	s_subb_u32 s36, s25, s36
	s_cmp_ge_u32 s36, s35
	v_readfirstlane_b32 s38, v1
	s_cselect_b32 s37, -1, 0
	s_cmp_ge_u32 s38, s34
	s_cselect_b32 s38, -1, 0
	s_cmp_eq_u32 s36, s35
	s_cselect_b32 s36, s38, s37
	s_cmp_lg_u32 s36, 0
	s_cselect_b32 s1, s1, s31
	s_cselect_b32 s0, s0, s33
	s_cbranch_execnz .LBB0_9
.LBB0_8:                                ;   in Loop: Header=BB0_6 Depth=1
	v_cvt_f32_u32_e32 v1, s34
	s_sub_i32 s0, 0, s34
	v_rcp_iflag_f32_e32 v1, v1
	s_nop 0
	v_mul_f32_e32 v1, 0x4f7ffffe, v1
	v_cvt_u32_f32_e32 v1, v1
	s_nop 0
	v_readfirstlane_b32 s1, v1
	s_mul_i32 s0, s0, s1
	s_mul_hi_u32 s0, s1, s0
	s_add_i32 s1, s1, s0
	s_mul_hi_u32 s0, s24, s1
	s_mul_i32 s31, s0, s34
	s_sub_i32 s31, s24, s31
	s_add_i32 s1, s0, 1
	s_sub_i32 s33, s31, s34
	s_cmp_ge_u32 s31, s34
	s_cselect_b32 s0, s1, s0
	s_cselect_b32 s31, s33, s31
	s_add_i32 s1, s0, 1
	s_cmp_ge_u32 s31, s34
	s_cselect_b32 s0, s1, s0
	s_mov_b32 s1, s30
.LBB0_9:                                ;   in Loop: Header=BB0_6 Depth=1
	s_mul_i32 s21, s34, s21
	s_mul_hi_u32 s31, s34, s20
	s_add_i32 s21, s31, s21
	s_mul_i32 s31, s35, s20
	s_add_i32 s21, s21, s31
	s_mul_i32 s31, s0, s35
	s_mul_hi_u32 s33, s0, s34
	s_load_dwordx2 s[36:37], s[26:27], 0x0
	s_add_i32 s31, s33, s31
	s_mul_i32 s33, s1, s34
	s_add_i32 s31, s31, s33
	s_mul_i32 s33, s0, s34
	s_sub_u32 s24, s24, s33
	s_subb_u32 s25, s25, s31
	s_waitcnt lgkmcnt(0)
	s_mul_i32 s25, s36, s25
	s_mul_hi_u32 s31, s36, s24
	s_add_i32 s25, s31, s25
	s_mul_i32 s31, s37, s24
	s_add_i32 s25, s25, s31
	s_mul_i32 s24, s36, s24
	s_add_u32 s13, s24, s13
	s_addc_u32 s15, s25, s15
	s_add_u32 s28, s28, 1
	s_addc_u32 s29, s29, 0
	;; [unrolled: 2-line block ×3, first 2 shown]
	s_add_u32 s8, s8, 8
	v_cmp_ge_u64_e32 vcc, s[28:29], v[2:3]
	s_mul_i32 s20, s34, s20
	s_addc_u32 s9, s9, 0
	s_cbranch_vccnz .LBB0_12
; %bb.10:                               ;   in Loop: Header=BB0_6 Depth=1
	s_mov_b64 s[24:25], s[0:1]
	s_branch .LBB0_6
.LBB0_11:                               ;   in Loop: Header=BB0_6 Depth=1
                                        ; implicit-def: $sgpr0_sgpr1
	s_branch .LBB0_8
.LBB0_12:
	v_mov_b64_e32 v[2:3], s[20:21]
	v_cmp_lt_u64_e32 vcc, s[2:3], v[2:3]
	s_mov_b64 s[24:25], 0
	s_cbranch_vccnz .LBB0_14
; %bb.13:
	v_cvt_f32_u32_e32 v1, s20
	s_sub_i32 s0, 0, s20
	v_rcp_iflag_f32_e32 v1, v1
	s_nop 0
	v_mul_f32_e32 v1, 0x4f7ffffe, v1
	v_cvt_u32_f32_e32 v1, v1
	s_nop 0
	v_readfirstlane_b32 s1, v1
	s_mul_i32 s0, s0, s1
	s_mul_hi_u32 s0, s1, s0
	s_add_i32 s1, s1, s0
	s_mul_hi_u32 s0, s2, s1
	s_mul_i32 s3, s0, s20
	s_sub_i32 s2, s2, s3
	s_add_i32 s1, s0, 1
	s_sub_i32 s3, s2, s20
	s_cmp_ge_u32 s2, s20
	s_cselect_b32 s0, s1, s0
	s_cselect_b32 s2, s3, s2
	s_add_i32 s1, s0, 1
	s_cmp_ge_u32 s2, s20
	s_cselect_b32 s24, s1, s0
.LBB0_14:
	s_lshl_b64 s[0:1], s[6:7], 3
	s_add_u32 s0, s10, s0
	s_addc_u32 s1, s11, s1
	s_load_dwordx2 s[0:1], s[0:1], 0x0
	s_waitcnt lgkmcnt(0)
	s_mov_b32 s1, 0x24924925
	v_mul_hi_u32 v1, v0, s1
	v_mul_u32_u24_e32 v2, 7, v1
	v_sub_u32_e32 v2, v0, v2
	s_mul_i32 s0, s0, s24
	s_add_u32 s6, s0, s13
	s_add_u32 s0, s22, 7
	v_mov_b32_e32 v4, 0
	s_addc_u32 s1, s23, 0
	v_mov_b64_e32 v[6:7], s[18:19]
	v_mov_b32_e32 v3, v4
	v_cmp_le_u64_e32 vcc, s[0:1], v[6:7]
	v_mad_u64_u32 v[14:15], s[0:1], s14, v2, 0
	s_movk_i32 s2, 0xf5
	v_lshl_add_u64 v[18:19], s[22:23], 0, v[2:3]
	s_movk_i32 s0, 0xf4
	v_cmp_gt_u32_e64 s[2:3], s2, v0
	v_cmp_lt_u32_e64 s[0:1], s0, v0
	s_or_b64 s[0:1], s[0:1], vcc
	v_cndmask_b32_e64 v5, 0, 1, s[2:3]
	v_cmp_gt_u64_e64 s[2:3], s[18:19], v[18:19]
	v_mov_b32_e32 v6, 0
	v_mov_b32_e32 v7, 0
	v_cndmask_b32_e64 v3, 0, 1, s[2:3]
	v_cndmask_b32_e64 v5, v3, v5, s[0:1]
	v_and_b32_e32 v5, 1, v5
	v_cmp_eq_u32_e64 s[0:1], 1, v5
	s_and_saveexec_b64 s[2:3], s[0:1]
	s_cbranch_execz .LBB0_16
; %bb.15:
	v_mul_lo_u32 v5, s12, v1
	v_add3_u32 v6, s6, v14, v5
	v_mov_b32_e32 v7, v4
	v_lshl_add_u64 v[6:7], v[6:7], 3, s[4:5]
	global_load_dwordx2 v[6:7], v[6:7], off
.LBB0_16:
	s_or_b64 exec, exec, s[2:3]
	v_mov_b32_e32 v5, 0
	s_and_saveexec_b64 s[2:3], s[0:1]
	s_cbranch_execz .LBB0_18
; %bb.17:
	v_add_u32_e32 v4, 35, v1
	v_mul_lo_u32 v4, s12, v4
	v_add3_u32 v4, s6, v14, v4
	v_mov_b32_e32 v5, 0
	v_lshl_add_u64 v[4:5], v[4:5], 3, s[4:5]
	global_load_dwordx2 v[4:5], v[4:5], off
.LBB0_18:
	s_or_b64 exec, exec, s[2:3]
	v_mov_b32_e32 v8, 0
	v_mov_b32_e32 v10, 0
	v_mov_b32_e32 v11, 0
	s_and_saveexec_b64 s[2:3], s[0:1]
	s_cbranch_execz .LBB0_20
; %bb.19:
	v_add_u32_e32 v9, 0x46, v1
	v_mul_lo_u32 v9, s12, v9
	v_add3_u32 v10, s6, v14, v9
	v_mov_b32_e32 v11, 0
	v_lshl_add_u64 v[10:11], v[10:11], 3, s[4:5]
	global_load_dwordx2 v[10:11], v[10:11], off
.LBB0_20:
	s_or_b64 exec, exec, s[2:3]
	v_mov_b32_e32 v9, 0
	s_and_saveexec_b64 s[2:3], s[0:1]
	s_cbranch_execz .LBB0_22
; %bb.21:
	v_add_u32_e32 v8, 0x69, v1
	v_mul_lo_u32 v8, s12, v8
	v_add3_u32 v8, s6, v14, v8
	v_mov_b32_e32 v9, 0
	v_lshl_add_u64 v[8:9], v[8:9], 3, s[4:5]
	global_load_dwordx2 v[8:9], v[8:9], off
.LBB0_22:
	s_or_b64 exec, exec, s[2:3]
	v_mov_b32_e32 v12, 0
	v_mov_b32_e32 v16, 0
	v_mov_b32_e32 v17, 0
	s_and_saveexec_b64 s[2:3], s[0:1]
	s_cbranch_execz .LBB0_24
; %bb.23:
	v_add_u32_e32 v13, 0x8c, v1
	v_mul_lo_u32 v13, s12, v13
	v_add3_u32 v16, s6, v14, v13
	v_mov_b32_e32 v17, 0
	v_lshl_add_u64 v[16:17], v[16:17], 3, s[4:5]
	global_load_dwordx2 v[16:17], v[16:17], off
.LBB0_24:
	;; [unrolled: 26-line block ×3, first 2 shown]
	s_or_b64 exec, exec, s[2:3]
	v_mov_b32_e32 v21, 0
	s_and_saveexec_b64 s[2:3], s[0:1]
	s_cbranch_execz .LBB0_30
; %bb.29:
	v_add_u32_e32 v15, 0xf5, v1
	v_mul_lo_u32 v15, s12, v15
	v_add3_u32 v20, s6, v14, v15
	v_mov_b32_e32 v21, 0
	v_lshl_add_u64 v[20:21], v[20:21], 3, s[4:5]
	global_load_dwordx2 v[20:21], v[20:21], off
.LBB0_30:
	s_or_b64 exec, exec, s[2:3]
	s_waitcnt vmcnt(0)
	v_pk_add_f32 v[16:17], v[6:7], v[16:17] neg_lo:[0,1] neg_hi:[0,1]
	v_pk_add_f32 v[24:25], v[10:11], v[22:23] neg_lo:[0,1] neg_hi:[0,1]
	;; [unrolled: 1-line block ×4, first 2 shown]
	v_pk_fma_f32 v[6:7], v[6:7], 2.0, v[16:17] op_sel_hi:[1,0,1] neg_lo:[0,0,1] neg_hi:[0,0,1]
	v_pk_fma_f32 v[12:13], v[10:11], 2.0, v[24:25] op_sel_hi:[1,0,1] neg_lo:[0,0,1] neg_hi:[0,0,1]
	;; [unrolled: 1-line block ×4, first 2 shown]
	v_pk_add_f32 v[8:9], v[6:7], v[12:13] neg_lo:[0,1] neg_hi:[0,1]
	v_pk_add_f32 v[22:23], v[10:11], v[4:5] neg_lo:[0,1] neg_hi:[0,1]
	v_pk_add_f32 v[4:5], v[16:17], v[24:25] op_sel:[0,1] op_sel_hi:[1,0] neg_lo:[0,1] neg_hi:[0,1]
	v_pk_add_f32 v[12:13], v[16:17], v[24:25] op_sel:[0,1] op_sel_hi:[1,0]
	s_mov_b32 s0, 0x3f3504f3
	v_mov_b32_e32 v5, v13
	v_pk_fma_f32 v[24:25], v[16:17], 2.0, v[4:5] op_sel_hi:[1,0,1] neg_lo:[0,0,1] neg_hi:[0,0,1]
	v_pk_add_f32 v[12:13], v[26:27], v[20:21] op_sel:[0,1] op_sel_hi:[1,0] neg_lo:[0,1] neg_hi:[0,1]
	v_pk_add_f32 v[16:17], v[26:27], v[20:21] op_sel:[0,1] op_sel_hi:[1,0]
	v_mul_u32_u24_e32 v19, 56, v1
	v_mov_b32_e32 v13, v17
	v_pk_fma_f32 v[16:17], v[26:27], 2.0, v[12:13] op_sel_hi:[1,0,1] neg_lo:[0,0,1] neg_hi:[0,0,1]
	s_nop 0
	v_pk_mul_f32 v[20:21], v[16:17], s[0:1] op_sel_hi:[1,0]
	v_pk_fma_f32 v[26:27], v[16:17], s[0:1], v[24:25] op_sel_hi:[1,0,1] neg_lo:[1,0,0] neg_hi:[1,0,0]
	s_movk_i32 s0, 0xf4
	v_pk_add_f32 v[16:17], v[26:27], v[20:21] op_sel:[0,1] op_sel_hi:[1,0] neg_lo:[0,1] neg_hi:[0,1]
	v_pk_add_f32 v[20:21], v[26:27], v[20:21] op_sel:[0,1] op_sel_hi:[1,0]
	v_pk_add_f32 v[26:27], v[8:9], v[22:23] op_sel:[0,1] op_sel_hi:[1,0] neg_lo:[0,1] neg_hi:[0,1]
	v_mov_b32_e32 v17, v21
	v_pk_add_f32 v[20:21], v[8:9], v[22:23] op_sel:[0,1] op_sel_hi:[1,0]
	v_cmp_lt_u32_e64 s[0:1], s0, v0
	v_mov_b32_e32 v20, v26
	s_and_saveexec_b64 s[2:3], s[0:1]
	s_xor_b64 s[0:1], exec, s[2:3]
; %bb.31:
	v_mul_u32_u24_e32 v19, 56, v1
                                        ; implicit-def: $vgpr6_vgpr7
                                        ; implicit-def: $vgpr10_vgpr11
                                        ; implicit-def: $vgpr8_vgpr9
                                        ; implicit-def: $vgpr22_vgpr23
                                        ; implicit-def: $vgpr24_vgpr25
                                        ; implicit-def: $vgpr12_vgpr13
                                        ; implicit-def: $vgpr4_vgpr5
; %bb.32:
	s_or_saveexec_b64 s[0:1], s[0:1]
	v_lshlrev_b32_e32 v15, 3, v2
	s_xor_b64 exec, exec, s[0:1]
	s_cbranch_execz .LBB0_34
; %bb.33:
	v_pk_fma_f32 v[6:7], v[6:7], 2.0, v[8:9] op_sel_hi:[1,0,1] neg_lo:[0,0,1] neg_hi:[0,0,1]
	v_pk_fma_f32 v[10:11], v[10:11], 2.0, v[22:23] op_sel_hi:[1,0,1] neg_lo:[0,0,1] neg_hi:[0,0,1]
	v_lshlrev_b32_e32 v2, 3, v19
	v_pk_add_f32 v[10:11], v[6:7], v[10:11] neg_lo:[0,1] neg_hi:[0,1]
	v_add3_u32 v2, 0, v2, v15
	v_pk_fma_f32 v[6:7], v[6:7], 2.0, v[10:11] op_sel_hi:[1,0,1] neg_lo:[0,0,1] neg_hi:[0,0,1]
	v_pk_fma_f32 v[22:23], v[24:25], 2.0, v[16:17] op_sel_hi:[1,0,1] neg_lo:[0,0,1] neg_hi:[0,0,1]
	s_mov_b32 s2, 0x3f3504f3
	ds_write2_b64 v2, v[6:7], v[22:23] offset1:7
	v_pk_fma_f32 v[6:7], v[8:9], 2.0, v[20:21] op_sel_hi:[1,0,1] neg_lo:[0,0,1] neg_hi:[0,0,1]
	v_pk_mul_f32 v[8:9], v[12:13], s[2:3] op_sel_hi:[1,0]
	v_pk_fma_f32 v[12:13], v[12:13], s[2:3], v[4:5] op_sel_hi:[1,0,1]
	s_nop 0
	v_pk_add_f32 v[22:23], v[12:13], v[8:9] op_sel:[0,1] op_sel_hi:[1,0] neg_lo:[0,1] neg_hi:[0,1]
	v_pk_add_f32 v[8:9], v[12:13], v[8:9] op_sel:[0,1] op_sel_hi:[1,0]
	s_nop 0
	v_mov_b32_e32 v23, v9
	v_pk_fma_f32 v[4:5], v[4:5], 2.0, v[22:23] op_sel_hi:[1,0,1] neg_lo:[0,0,1] neg_hi:[0,0,1]
	ds_write2_b64 v2, v[6:7], v[4:5] offset0:14 offset1:21
	ds_write2_b64 v2, v[10:11], v[16:17] offset0:28 offset1:35
	;; [unrolled: 1-line block ×3, first 2 shown]
.LBB0_34:
	s_or_b64 exec, exec, s[0:1]
	v_and_b32_e32 v30, 7, v1
	v_lshlrev_b32_e32 v2, 5, v30
	s_waitcnt lgkmcnt(0)
	s_barrier
	global_load_dwordx4 v[4:7], v2, s[16:17] offset:16
	global_load_dwordx4 v[8:11], v2, s[16:17]
	v_add3_u32 v2, 0, v19, v15
	ds_read2_b32 v[12:13], v2 offset1:1
	ds_read_b64 v[22:23], v2 offset:3136
	ds_read_b64 v[24:25], v2 offset:6272
	;; [unrolled: 1-line block ×4, first 2 shown]
	v_lshrrev_b32_e32 v19, 3, v1
	v_mul_u32_u24_e32 v19, 40, v19
	v_or_b32_e32 v19, v19, v30
	s_mov_b32 s0, 0x3e9e377a
	s_mov_b32 s1, 0x3f167918
	;; [unrolled: 1-line block ×4, first 2 shown]
	v_mul_u32_u24_e32 v19, 56, v19
	s_movk_i32 s7, 0x118
	v_add3_u32 v15, 0, v19, v15
	s_waitcnt lgkmcnt(0)
	s_barrier
	s_waitcnt vmcnt(1)
	v_pk_mul_f32 v[30:31], v[4:5], v[26:27] op_sel:[1,1] op_sel_hi:[0,1]
	v_pk_mul_f32 v[32:33], v[6:7], v[28:29] op_sel:[0,1]
	s_waitcnt vmcnt(0)
	v_pk_mul_f32 v[34:35], v[8:9], v[22:23] op_sel:[0,1]
	v_pk_mul_f32 v[36:37], v[10:11], v[24:25] op_sel:[0,1]
	v_pk_fma_f32 v[38:39], v[4:5], v[26:27], v[30:31] neg_lo:[0,0,1] neg_hi:[0,0,1]
	v_pk_fma_f32 v[4:5], v[4:5], v[26:27], v[30:31] op_sel_hi:[1,0,1]
	v_pk_fma_f32 v[26:27], v[6:7], v[28:29], v[32:33] op_sel:[0,0,1] op_sel_hi:[1,1,0] neg_lo:[0,0,1] neg_hi:[0,0,1]
	v_pk_fma_f32 v[6:7], v[6:7], v[28:29], v[32:33] op_sel:[0,0,1] op_sel_hi:[1,0,0]
	v_pk_fma_f32 v[28:29], v[8:9], v[22:23], v[34:35] op_sel:[0,0,1] op_sel_hi:[1,1,0] neg_lo:[0,0,1] neg_hi:[0,0,1]
	v_pk_fma_f32 v[8:9], v[8:9], v[22:23], v[34:35] op_sel:[0,0,1] op_sel_hi:[1,0,0]
	;; [unrolled: 2-line block ×3, first 2 shown]
	v_mov_b32_e32 v27, v7
	v_mov_b32_e32 v29, v9
	;; [unrolled: 1-line block ×10, first 2 shown]
	v_pk_add_f32 v[8:9], v[24:25], v[30:31] neg_lo:[0,1] neg_hi:[0,1]
	v_pk_add_f32 v[10:11], v[28:29], v[26:27] neg_lo:[0,1] neg_hi:[0,1]
	v_pk_add_f32 v[30:31], v[28:29], v[26:27]
	v_pk_add_f32 v[32:33], v[22:23], v[28:29] neg_lo:[0,1] neg_hi:[0,1]
	v_pk_add_f32 v[28:29], v[28:29], v[12:13]
	v_pk_add_f32 v[4:5], v[6:7], v[4:5] neg_lo:[0,1] neg_hi:[0,1]
	v_pk_add_f32 v[24:25], v[22:23], v[38:39] neg_lo:[0,1] neg_hi:[0,1]
	v_pk_add_f32 v[6:7], v[22:23], v[38:39]
	v_mov_b32_e32 v36, v9
	v_pk_add_f32 v[22:23], v[28:29], v[22:23]
	v_mov_b32_e32 v28, v5
	v_pk_fma_f32 v[30:31], v[30:31], 0.5, v[12:13] op_sel_hi:[1,0,1] neg_lo:[1,0,0] neg_hi:[1,0,0]
	v_pk_mul_f32 v[40:41], v[24:25], s[2:3] op_sel_hi:[1,0]
	v_pk_add_f32 v[8:9], v[8:9], v[36:37]
	v_pk_add_f32 v[4:5], v[4:5], v[28:29]
	v_pk_add_f32 v[34:35], v[38:39], v[26:27] neg_lo:[0,1] neg_hi:[0,1]
	v_pk_mul_f32 v[42:43], v[10:11], s[8:9] op_sel_hi:[1,0]
	v_pk_fma_f32 v[6:7], v[6:7], 0.5, v[12:13] op_sel_hi:[1,0,1] neg_lo:[1,0,0] neg_hi:[1,0,0]
	v_pk_mul_f32 v[10:11], v[10:11], s[2:3] op_sel_hi:[1,0]
	v_pk_add_f32 v[12:13], v[22:23], v[38:39]
	v_pk_add_f32 v[28:29], v[30:31], v[40:41] op_sel:[0,1] op_sel_hi:[1,0] neg_lo:[0,1] neg_hi:[0,1]
	v_pk_add_f32 v[30:31], v[30:31], v[40:41] op_sel:[0,1] op_sel_hi:[1,0]
	v_mov_b32_e32 v9, v25
	v_mov_b32_e32 v5, v24
	v_pk_add_f32 v[32:33], v[32:33], v[34:35]
	v_pk_add_f32 v[34:35], v[6:7], v[10:11] op_sel:[0,1] op_sel_hi:[1,0]
	v_pk_add_f32 v[6:7], v[6:7], v[10:11] op_sel:[0,1] op_sel_hi:[1,0] neg_lo:[0,1] neg_hi:[0,1]
	v_pk_add_f32 v[22:23], v[12:13], v[26:27]
	v_pk_add_f32 v[10:11], v[30:31], v[42:43] op_sel:[0,1] op_sel_hi:[1,0] neg_lo:[0,1] neg_hi:[0,1]
	v_pk_add_f32 v[12:13], v[28:29], v[42:43] op_sel:[0,1] op_sel_hi:[1,0]
	v_pk_mul_f32 v[8:9], v[8:9], s[0:1]
	v_pk_mul_f32 v[24:25], v[4:5], s[0:1]
	v_mov_b32_e32 v26, v12
	v_mov_b32_e32 v27, v11
	;; [unrolled: 1-line block ×5, first 2 shown]
	v_pk_fma_f32 v[30:31], v[4:5], s[0:1], v[6:7] neg_lo:[1,0,0] neg_hi:[1,0,0]
	v_pk_fma_f32 v[4:5], v[4:5], s[0:1], v[34:35]
	v_pk_fma_f32 v[28:29], v[32:33], s[0:1], v[10:11] op_sel_hi:[1,0,1]
	v_pk_add_f32 v[10:11], v[34:35], v[12:13]
	v_pk_add_f32 v[6:7], v[6:7], v[12:13] neg_lo:[0,1] neg_hi:[0,1]
	v_mov_b32_e32 v9, v24
	v_mov_b32_e32 v11, v31
	;; [unrolled: 1-line block ×3, first 2 shown]
	v_pk_fma_f32 v[26:27], v[32:33], s[0:1], v[26:27] op_sel_hi:[1,0,1]
	v_pk_add_f32 v[30:31], v[8:9], v[10:11]
	v_pk_add_f32 v[24:25], v[8:9], v[6:7]
	v_cmp_gt_u32_e64 s[0:1], s7, v0
	ds_write2_b64 v15, v[26:27], v[28:29] offset0:112 offset1:168
	ds_write2_b64 v15, v[22:23], v[30:31] offset1:56
	ds_write_b64 v15, v[24:25] offset:1792
	s_waitcnt lgkmcnt(0)
	s_barrier
	s_and_saveexec_b64 s[2:3], s[0:1]
	s_cbranch_execz .LBB0_36
; %bb.35:
	ds_read_b64 v[22:23], v2
	ds_read_b64 v[30:31], v2 offset:2240
	ds_read_b64 v[26:27], v2 offset:4480
	;; [unrolled: 1-line block ×6, first 2 shown]
.LBB0_36:
	s_or_b64 exec, exec, s[2:3]
	s_movk_i32 s0, 0x117
	v_cmp_lt_u32_e64 s[0:1], s0, v0
	v_cmp_gt_u32_e64 s[2:3], s7, v0
	s_or_b64 vcc, s[0:1], vcc
	s_nop 0
	v_cndmask_b32_e64 v2, 0, 1, s[2:3]
	v_cndmask_b32_e32 v2, v3, v2, vcc
	v_and_b32_e32 v2, 1, v2
	v_cmp_eq_u32_e32 vcc, 1, v2
	s_and_saveexec_b64 s[0:1], vcc
	s_cbranch_execz .LBB0_38
; %bb.37:
	s_mov_b32 s0, 0x6666667
	v_mul_hi_u32 v2, v1, s0
	v_mul_u32_u24_e32 v2, 40, v2
	v_sub_u32_e32 v1, v1, v2
	v_mul_u32_u24_e32 v2, 6, v1
	v_lshlrev_b32_e32 v10, 3, v2
	global_load_dwordx4 v[2:5], v10, s[16:17] offset:272
	global_load_dwordx4 v[6:9], v10, s[16:17] offset:256
	s_movk_i32 s1, 0xffd8
	global_load_dwordx4 v[10:13], v10, s[16:17] offset:288
	v_add_u32_e32 v19, 0xf0, v1
	v_mul_lo_u32 v15, v18, s1
	v_mul_lo_u32 v40, v1, v18
	;; [unrolled: 1-line block ×3, first 2 shown]
	v_lshrrev_b32_e32 v18, 9, v40
	v_and_b32_e32 v19, 63, v40
	v_lshrrev_b32_e32 v40, 3, v40
	v_add_u32_e32 v49, v48, v15
	s_add_i32 s0, 0, 0x3d40
	v_and_b32_e32 v18, 0x1f8, v18
	v_lshl_add_u32 v19, v19, 3, 0
	v_and_b32_e32 v42, 0x1f8, v40
	v_add_u32_e32 v43, v49, v15
	v_add_u32_e32 v50, s0, v18
	ds_read_b64 v[40:41], v19 offset:15680
	v_add_u32_e32 v18, s0, v42
	v_lshrrev_b32_e32 v19, 9, v43
	v_and_b32_e32 v44, 63, v43
	v_lshrrev_b32_e32 v45, 3, v43
	v_add_u32_e32 v51, v43, v15
	ds_read_b64 v[42:43], v18 offset:512
	v_and_b32_e32 v18, 0x1f8, v19
	v_lshl_add_u32 v19, v44, 3, 0
	v_and_b32_e32 v44, 0x1f8, v45
	v_add_u32_e32 v53, v51, v15
	v_add_u32_e32 v45, s0, v18
	;; [unrolled: 1-line block ×3, first 2 shown]
	v_and_b32_e32 v47, 63, v53
	ds_read_b64 v[18:19], v19 offset:15680
	ds_read_b64 v[44:45], v45 offset:1024
	v_lshl_add_u32 v55, v47, 3, 0
	ds_read_b64 v[46:47], v46 offset:512
	v_lshrrev_b32_e32 v54, 3, v53
	v_and_b32_e32 v54, 0x1f8, v54
	v_add_u32_e32 v54, s0, v54
	v_add_u32_e32 v15, v53, v15
	s_waitcnt lgkmcnt(0)
	v_mul_f32_e32 v58, v19, v47
	v_mul_f32_e32 v59, v18, v47
	v_fma_f32 v58, v18, v46, -v58
	v_fmac_f32_e32 v59, v19, v46
	ds_read_b64 v[18:19], v55 offset:15680
	ds_read_b64 v[46:47], v54 offset:512
	v_lshrrev_b32_e32 v56, 9, v15
	v_and_b32_e32 v57, 63, v15
	v_lshrrev_b32_e32 v15, 3, v15
	v_and_b32_e32 v56, 0x1f8, v56
	v_and_b32_e32 v15, 0x1f8, v15
	v_lshl_add_u32 v54, v57, 3, 0
	v_add_u32_e32 v55, s0, v56
	v_add_u32_e32 v15, s0, v15
	s_waitcnt lgkmcnt(0)
	v_mul_f32_e32 v56, v19, v47
	v_mul_f32_e32 v57, v18, v47
	v_fma_f32 v56, v18, v46, -v56
	v_fmac_f32_e32 v57, v19, v46
	ds_read_b64 v[18:19], v54 offset:15680
	ds_read_b64 v[46:47], v15 offset:512
	v_mul_f32_e32 v15, v59, v45
	v_fma_f32 v60, v44, v58, -v15
	v_mul_f32_e32 v58, v58, v45
	v_fmac_f32_e32 v58, v44, v59
	s_waitcnt lgkmcnt(0)
	v_mul_f32_e32 v15, v19, v47
	ds_read_b64 v[44:45], v55 offset:1024
	v_mul_f32_e32 v55, v18, v47
	v_fma_f32 v15, v18, v46, -v15
	v_mov_b32_e32 v38, v31
	v_mov_b32_e32 v39, v28
	v_mul_f32_e32 v54, v41, v43
	v_mul_f32_e32 v43, v40, v43
	v_fmac_f32_e32 v55, v19, v46
	v_fma_f32 v19, v40, v42, -v54
	v_fmac_f32_e32 v43, v42, v41
	v_mov_b32_e32 v36, v30
	v_mov_b32_e32 v37, v29
	v_mov_b32_e32 v34, v21
	v_mov_b32_e32 v35, v24
	v_mov_b32_e32 v32, v20
	v_mov_b32_e32 v33, v25
	v_and_b32_e32 v52, 63, v51
	s_waitcnt vmcnt(2)
	v_mov_b32_e32 v47, v2
	s_waitcnt vmcnt(1)
	v_mul_f32_e32 v18, v30, v7
	v_fmac_f32_e32 v18, v31, v6
	v_mov_b32_e32 v31, v2
	v_mov_b32_e32 v2, v7
	v_pk_mul_f32 v[38:39], v[38:39], v[2:3]
	v_lshrrev_b32_e32 v2, 9, v53
	v_and_b32_e32 v2, 0x1f8, v2
	v_add_u32_e32 v2, s0, v2
	ds_read_b64 v[40:41], v2 offset:1024
	v_mov_b32_e32 v30, v6
	v_pk_fma_f32 v[6:7], v[36:37], v[30:31], v[38:39] neg_lo:[0,0,1] neg_hi:[0,0,1]
	v_pk_fma_f32 v[36:37], v[36:37], v[30:31], v[38:39]
	s_waitcnt vmcnt(0)
	v_mov_b32_e32 v30, v13
	s_waitcnt lgkmcnt(0)
	v_mul_f32_e32 v7, v57, v41
	v_mov_b32_e32 v31, v5
	v_and_b32_e32 v2, 63, v48
	v_fma_f32 v59, v40, v56, -v7
	v_lshrrev_b32_e32 v7, 3, v48
	v_mov_b32_e32 v38, v12
	v_mov_b32_e32 v39, v4
	v_pk_mul_f32 v[34:35], v[34:35], v[30:31]
	v_lshl_add_u32 v2, v2, 3, 0
	v_and_b32_e32 v7, 0x1f8, v7
	v_pk_fma_f32 v[30:31], v[32:33], v[38:39], v[34:35] neg_lo:[0,0,1] neg_hi:[0,0,1]
	v_pk_fma_f32 v[32:33], v[32:33], v[38:39], v[34:35]
	v_add_u32_e32 v7, s0, v7
	ds_read_b64 v[34:35], v2 offset:15680
	ds_read_b64 v[38:39], v7 offset:512
	v_lshrrev_b32_e32 v2, 9, v48
	v_and_b32_e32 v2, 0x1f8, v2
	v_mul_f32_e32 v32, v20, v13
	v_add_u32_e32 v2, s0, v2
	v_fmac_f32_e32 v32, v21, v12
	ds_read_b64 v[12:13], v2 offset:1024
	s_waitcnt lgkmcnt(1)
	v_mul_f32_e32 v7, v34, v38
	v_fma_f32 v2, -v35, v39, v7
	v_pk_mul_f32 v[20:21], v[34:35], v[38:39] op_sel:[1,0] op_sel_hi:[0,1]
	v_add_f32_e32 v7, v20, v21
	s_waitcnt lgkmcnt(0)
	v_mul_f32_e32 v36, v2, v13
	v_fmac_f32_e32 v36, v12, v7
	v_mul_f32_e32 v7, v7, v13
	v_fma_f32 v38, v12, v2, -v7
	v_mul_f32_e32 v7, v55, v45
	v_fma_f32 v53, v44, v15, -v7
	v_lshrrev_b32_e32 v7, 3, v49
	v_and_b32_e32 v2, 63, v49
	v_and_b32_e32 v7, 0x1f8, v7
	ds_read_b64 v[34:35], v50 offset:1024
	v_lshl_add_u32 v2, v2, 3, 0
	v_add_u32_e32 v7, s0, v7
	ds_read_b64 v[20:21], v7 offset:512
	ds_read_b64 v[12:13], v2 offset:15680
	v_lshrrev_b32_e32 v7, 9, v49
	v_mul_f32_e32 v56, v56, v41
	s_waitcnt lgkmcnt(2)
	v_mul_f32_e32 v2, v35, v43
	v_and_b32_e32 v7, 0x1f8, v7
	v_fmac_f32_e32 v56, v40, v57
	v_mul_f32_e32 v39, v15, v45
	v_fma_f32 v57, v34, v19, -v2
	v_lshrrev_b32_e32 v2, 3, v51
	v_add_u32_e32 v7, s0, v7
	s_waitcnt lgkmcnt(0)
	v_mul_f32_e32 v15, v12, v20
	v_mul_f32_e32 v54, v35, v19
	v_fma_f32 v15, -v13, v21, v15
	v_pk_mul_f32 v[12:13], v[12:13], v[20:21] op_sel:[1,0] op_sel_hi:[0,1]
	ds_read_b64 v[20:21], v7 offset:1024
	v_lshl_add_u32 v7, v52, 3, 0
	v_and_b32_e32 v2, 0x1f8, v2
	v_fmac_f32_e32 v54, v34, v43
	v_add_u32_e32 v2, s0, v2
	ds_read_b64 v[34:35], v7 offset:15680
	ds_read_b64 v[40:41], v2 offset:512
	v_lshrrev_b32_e32 v7, 9, v51
	v_and_b32_e32 v7, 0x1f8, v7
	v_add_u32_e32 v7, s0, v7
	v_mul_hi_u32_u24_e32 v0, 0xea0ea1, v0
	s_waitcnt lgkmcnt(0)
	v_mul_f32_e32 v2, v34, v40
	v_fma_f32 v2, -v35, v41, v2
	v_pk_mul_f32 v[34:35], v[34:35], v[40:41] op_sel:[1,0] op_sel_hi:[0,1]
	ds_read_b64 v[40:41], v7 offset:1024
	s_movk_i32 s0, 0x118
	v_mad_u32_u24 v1, v0, s0, v1
	v_add_f32_e32 v7, v34, v35
	v_add_f32_e32 v13, v12, v13
	s_waitcnt lgkmcnt(0)
	v_mul_f32_e32 v0, v2, v41
	v_mul_f32_e32 v12, v15, v21
	v_mov_b32_e32 v46, v9
	v_fmac_f32_e32 v0, v40, v7
	v_mul_f32_e32 v7, v7, v41
	v_pk_mul_f32 v[34:35], v[26:27], v[8:9]
	v_mov_b32_e32 v41, v27
	v_mov_b32_e32 v27, v28
	v_fmac_f32_e32 v12, v20, v13
	v_mul_f32_e32 v13, v13, v21
	v_fma_f32 v2, v40, v2, -v7
	v_mov_b32_e32 v9, v8
	v_mov_b32_e32 v40, v29
	v_pk_mul_f32 v[26:27], v[26:27], v[46:47]
	v_mov_b32_e32 v8, v3
	v_mov_b32_e32 v28, v29
	v_fma_f32 v20, v20, v15, -v13
	v_pk_fma_f32 v[28:29], v[28:29], v[8:9], v[26:27] op_sel:[0,0,1] op_sel_hi:[0,1,0] neg_lo:[1,0,0] neg_hi:[1,0,0]
	v_pk_mul_f32 v[42:43], v[16:17], v[10:11]
	v_pk_fma_f32 v[8:9], v[40:41], v[8:9], v[26:27] op_sel:[0,0,1] op_sel_hi:[1,1,0]
	v_mov_b32_e32 v15, v10
	v_mov_b32_e32 v26, v25
	;; [unrolled: 1-line block ×4, first 2 shown]
	v_pk_mul_f32 v[10:11], v[26:27], v[10:11]
	v_mov_b32_e32 v26, v34
	v_mov_b32_e32 v27, v42
	;; [unrolled: 1-line block ×3, first 2 shown]
	v_add_f32_e32 v5, v18, v32
	v_add_u32_e32 v8, s6, v14
	v_pk_add_f32 v[26:27], v[26:27], v[42:43] neg_lo:[0,1] neg_hi:[0,1]
	v_mov_b32_e32 v16, v24
	v_mov_b32_e32 v14, v4
	;; [unrolled: 1-line block ×4, first 2 shown]
	v_pk_fma_f32 v[24:25], v[24:25], v[4:5], v[10:11] op_sel_hi:[0,1,1] neg_lo:[0,0,1] neg_hi:[0,0,1]
	v_pk_fma_f32 v[10:11], v[16:17], v[14:15], v[10:11]
	v_mov_b32_e32 v4, v27
	v_mov_b32_e32 v29, v9
	;; [unrolled: 1-line block ×3, first 2 shown]
	v_pk_add_f32 v[40:41], v[26:27], v[4:5]
	v_pk_add_f32 v[42:43], v[6:7], v[30:31]
	v_fmac_f32_e32 v39, v44, v55
	v_pk_add_f32 v[14:15], v[28:29], v[24:25]
	v_pk_add_f32 v[44:45], v[40:41], v[42:43]
	v_add_f32_e32 v17, v15, v5
	v_mov_b32_e32 v45, v43
	v_mov_b32_e32 v16, v14
	v_add_u32_e32 v3, 40, v1
	v_pk_add_f32 v[16:17], v[44:45], v[16:17]
	v_mad_u64_u32 v[44:45], s[0:1], s12, v3, v[8:9]
	v_mov_b32_e32 v46, v33
	v_mov_b32_e32 v47, v24
	v_add_u32_e32 v3, 0x50, v1
	v_mov_b32_e32 v48, v37
	v_mov_b32_e32 v49, v28
	;; [unrolled: 1-line block ×7, first 2 shown]
	v_mad_u64_u32 v[34:35], s[0:1], s12, v1, v[8:9]
	v_mad_u64_u32 v[24:25], s[0:1], s12, v3, v[8:9]
	v_pk_add_f32 v[46:47], v[46:47], v[48:49] neg_lo:[0,1] neg_hi:[0,1]
	v_pk_add_f32 v[26:27], v[50:51], v[26:27] neg_lo:[0,1] neg_hi:[0,1]
	;; [unrolled: 1-line block ×3, first 2 shown]
	v_mov_b32_e32 v4, v14
	v_mov_b32_e32 v28, v40
	;; [unrolled: 1-line block ×3, first 2 shown]
	s_mov_b32 s0, 0x3d64c772
	v_mov_b32_e32 v30, v46
	v_mov_b32_e32 v31, v7
	v_mov_b32_e32 v32, v26
	v_mov_b32_e32 v33, v47
	s_mov_b32 s6, 0xbf08b237
	v_pk_add_f32 v[28:29], v[4:5], v[28:29] neg_lo:[0,1] neg_hi:[0,1]
	s_mov_b32 s1, 0x3f4a47b2
	v_pk_add_f32 v[50:51], v[46:47], v[26:27]
	v_pk_add_f32 v[30:31], v[30:31], v[32:33] neg_lo:[0,1] neg_hi:[0,1]
	s_mov_b32 s7, 0x3eae86e6
	v_mov_b32_e32 v32, v6
	v_mov_b32_e32 v47, v27
	v_pk_mul_f32 v[28:29], v[28:29], s[0:1]
	v_pk_add_f32 v[48:49], v[42:43], v[14:15] neg_lo:[0,1] neg_hi:[0,1]
	s_mov_b32 s2, s1
	s_mov_b32 s3, s0
	v_pk_add_f32 v[22:23], v[22:23], v[16:17]
	s_mov_b32 s0, 0xbf955555
	v_pk_mul_f32 v[30:31], v[30:31], s[6:7]
	v_pk_add_f32 v[32:33], v[32:33], v[46:47] neg_lo:[0,1] neg_hi:[0,1]
	s_mov_b32 s8, s7
	s_mov_b32 s9, s6
	v_pk_fma_f32 v[10:11], v[48:49], s[2:3], v[28:29]
	v_pk_fma_f32 v[16:17], v[16:17], s[0:1], v[22:23] op_sel_hi:[1,0,1]
	v_pk_add_f32 v[18:19], v[50:51], v[6:7]
	s_mov_b32 s0, 0x3ee1c552
	v_pk_fma_f32 v[46:47], v[32:33], s[8:9], v[30:31]
	v_pk_add_f32 v[10:11], v[10:11], v[16:17]
	v_pk_fma_f32 v[46:47], v[18:19], s[0:1], v[46:47] op_sel_hi:[1,0,1]
	v_mul_f32_e32 v55, v22, v54
	v_pk_add_f32 v[50:51], v[10:11], v[46:47] neg_lo:[0,1] neg_hi:[0,1]
	v_pk_add_f32 v[10:11], v[10:11], v[46:47]
	v_mov_b32_e32 v47, v50
	v_mov_b32_e32 v46, v11
	v_mul_f32_e32 v3, v39, v51
	v_pk_mul_f32 v[36:37], v[46:47], v[36:37] op_sel_hi:[1,0]
	v_mul_f32_e32 v47, v39, v10
	v_fma_f32 v46, v53, v10, -v3
	v_add_u32_e32 v3, 0x78, v1
	v_mov_b32_e32 v10, v50
	v_pk_fma_f32 v[10:11], v[10:11], v[38:39], v[36:37] op_sel_hi:[1,0,1]
	v_pk_fma_f32 v[36:37], v[50:51], v[38:39], v[36:37] neg_lo:[0,0,1] neg_hi:[0,0,1]
	v_mad_u64_u32 v[38:39], s[6:7], s12, v3, v[8:9]
	v_add_u32_e32 v3, 0xa0, v1
	v_fmac_f32_e32 v47, v53, v51
	v_mad_u64_u32 v[50:51], s[6:7], s12, v3, v[8:9]
	v_add_u32_e32 v3, 0xc8, v1
	v_add_u32_e32 v1, 0xf0, v1
	v_mad_u64_u32 v[52:53], s[6:7], s12, v3, v[8:9]
	v_mad_u64_u32 v[8:9], s[6:7], s12, v1, v[8:9]
	v_mul_f32_e32 v1, v23, v54
	v_mov_b32_e32 v35, 0
	v_pk_mul_f32 v[48:49], v[48:49], s[2:3]
	v_mov_b32_e32 v41, v15
	v_mov_b32_e32 v43, v5
	v_fma_f32 v54, v22, v57, -v1
	v_mov_b32_e32 v45, v35
	v_mov_b32_e32 v25, v35
	;; [unrolled: 1-line block ×6, first 2 shown]
	v_pk_mul_f32 v[32:33], v[32:33], s[8:9]
	v_fmac_f32_e32 v55, v23, v57
	v_mov_b32_e32 v22, v48
	v_mov_b32_e32 v23, v29
	v_pk_add_f32 v[4:5], v[40:41], v[42:43] neg_lo:[0,1] neg_hi:[0,1]
	s_mov_b32 s2, 0x3f3bfb3b
	v_lshl_add_u64 v[34:35], v[34:35], 3, s[4:5]
	v_lshl_add_u64 v[44:45], v[44:45], 3, s[4:5]
	;; [unrolled: 1-line block ×7, first 2 shown]
	v_pk_fma_f32 v[14:15], v[4:5], s[2:3], v[22:23] op_sel_hi:[1,0,1] neg_lo:[1,0,1] neg_hi:[1,0,1]
	v_pk_add_f32 v[6:7], v[26:27], v[6:7] neg_lo:[0,1] neg_hi:[0,1]
	s_mov_b32 s4, 0x3f5ff5aa
	v_mov_b32_e32 v22, v32
	v_mov_b32_e32 v23, v31
	v_pk_fma_f32 v[22:23], v[6:7], s[4:5], v[22:23] op_sel_hi:[1,0,1] neg_lo:[1,0,1] neg_hi:[1,0,1]
	v_pk_add_f32 v[14:15], v[14:15], v[16:17]
	v_pk_fma_f32 v[22:23], v[18:19], s[0:1], v[22:23] op_sel_hi:[1,0,1]
	v_mov_b32_e32 v31, v33
	v_pk_add_f32 v[26:27], v[14:15], v[22:23] neg_lo:[0,1] neg_hi:[0,1]
	v_pk_add_f32 v[14:15], v[14:15], v[22:23]
	v_mov_b32_e32 v29, v49
	global_store_dwordx2 v[34:35], v[54:55], off
	global_store_dwordx2 v[44:45], v[46:47], off
	v_mov_b32_e32 v23, v15
	v_mov_b32_e32 v34, v15
	v_mul_f32_e32 v15, v14, v56
	v_mul_f32_e32 v1, v27, v56
	v_pk_fma_f32 v[6:7], v[6:7], s[4:5], v[30:31] op_sel_hi:[1,0,1] neg_lo:[0,0,1] neg_hi:[0,0,1]
	v_pk_fma_f32 v[4:5], v[4:5], s[2:3], v[28:29] op_sel_hi:[1,0,1] neg_lo:[0,0,1] neg_hi:[0,0,1]
	v_fmac_f32_e32 v15, v27, v59
	v_fma_f32 v14, v14, v59, -v1
	v_pk_fma_f32 v[6:7], v[18:19], s[0:1], v[6:7] op_sel_hi:[1,0,1]
	v_pk_add_f32 v[4:5], v[4:5], v[16:17]
	global_store_dwordx2 v[24:25], v[14:15], off
	v_pk_add_f32 v[14:15], v[4:5], v[6:7] neg_lo:[0,1] neg_hi:[0,1]
	v_pk_add_f32 v[4:5], v[6:7], v[4:5]
	v_mov_b32_e32 v35, v26
	v_mul_f32_e32 v1, v15, v58
	v_mov_b32_e32 v16, v5
	v_mov_b32_e32 v17, v14
	;; [unrolled: 1-line block ×3, first 2 shown]
	v_pk_mul_f32 v[12:13], v[34:35], v[12:13] op_sel_hi:[1,0]
	v_mul_f32_e32 v7, v4, v58
	v_fma_f32 v6, v4, v60, -v1
	v_mov_b32_e32 v4, v14
	v_pk_mul_f32 v[0:1], v[16:17], v[0:1] op_sel_hi:[1,0]
	v_pk_fma_f32 v[34:35], v[26:27], v[20:21], v[12:13] neg_lo:[0,0,1] neg_hi:[0,0,1]
	v_pk_fma_f32 v[12:13], v[22:23], v[20:21], v[12:13] op_sel_hi:[1,0,1]
	v_fmac_f32_e32 v7, v15, v60
	v_pk_fma_f32 v[14:15], v[14:15], v[2:3], v[0:1] neg_lo:[0,0,1] neg_hi:[0,0,1]
	v_pk_fma_f32 v[0:1], v[4:5], v[2:3], v[0:1] op_sel_hi:[1,0,1]
	v_mov_b32_e32 v35, v13
	v_mov_b32_e32 v15, v1
	;; [unrolled: 1-line block ×3, first 2 shown]
	global_store_dwordx2 v[38:39], v[14:15], off
	global_store_dwordx2 v[50:51], v[6:7], off
	;; [unrolled: 1-line block ×4, first 2 shown]
.LBB0_38:
	s_endpgm
	.section	.rodata,"a",@progbits
	.p2align	6, 0x0
	.amdhsa_kernel fft_rtc_fwd_len280_factors_8_5_7_wgs_392_tpt_56_sp_ip_CI_sbcc_twdbase6_3step_dirReg_intrinsicReadWrite
		.amdhsa_group_segment_fixed_size 0
		.amdhsa_private_segment_fixed_size 0
		.amdhsa_kernarg_size 96
		.amdhsa_user_sgpr_count 2
		.amdhsa_user_sgpr_dispatch_ptr 0
		.amdhsa_user_sgpr_queue_ptr 0
		.amdhsa_user_sgpr_kernarg_segment_ptr 1
		.amdhsa_user_sgpr_dispatch_id 0
		.amdhsa_user_sgpr_kernarg_preload_length 0
		.amdhsa_user_sgpr_kernarg_preload_offset 0
		.amdhsa_user_sgpr_private_segment_size 0
		.amdhsa_uses_dynamic_stack 0
		.amdhsa_enable_private_segment 0
		.amdhsa_system_sgpr_workgroup_id_x 1
		.amdhsa_system_sgpr_workgroup_id_y 0
		.amdhsa_system_sgpr_workgroup_id_z 0
		.amdhsa_system_sgpr_workgroup_info 0
		.amdhsa_system_vgpr_workitem_id 0
		.amdhsa_next_free_vgpr 61
		.amdhsa_next_free_sgpr 41
		.amdhsa_accum_offset 64
		.amdhsa_reserve_vcc 1
		.amdhsa_float_round_mode_32 0
		.amdhsa_float_round_mode_16_64 0
		.amdhsa_float_denorm_mode_32 3
		.amdhsa_float_denorm_mode_16_64 3
		.amdhsa_dx10_clamp 1
		.amdhsa_ieee_mode 1
		.amdhsa_fp16_overflow 0
		.amdhsa_tg_split 0
		.amdhsa_exception_fp_ieee_invalid_op 0
		.amdhsa_exception_fp_denorm_src 0
		.amdhsa_exception_fp_ieee_div_zero 0
		.amdhsa_exception_fp_ieee_overflow 0
		.amdhsa_exception_fp_ieee_underflow 0
		.amdhsa_exception_fp_ieee_inexact 0
		.amdhsa_exception_int_div_zero 0
	.end_amdhsa_kernel
	.text
.Lfunc_end0:
	.size	fft_rtc_fwd_len280_factors_8_5_7_wgs_392_tpt_56_sp_ip_CI_sbcc_twdbase6_3step_dirReg_intrinsicReadWrite, .Lfunc_end0-fft_rtc_fwd_len280_factors_8_5_7_wgs_392_tpt_56_sp_ip_CI_sbcc_twdbase6_3step_dirReg_intrinsicReadWrite
                                        ; -- End function
	.section	.AMDGPU.csdata,"",@progbits
; Kernel info:
; codeLenInByte = 5588
; NumSgprs: 47
; NumVgprs: 61
; NumAgprs: 0
; TotalNumVgprs: 61
; ScratchSize: 0
; MemoryBound: 0
; FloatMode: 240
; IeeeMode: 1
; LDSByteSize: 0 bytes/workgroup (compile time only)
; SGPRBlocks: 5
; VGPRBlocks: 7
; NumSGPRsForWavesPerEU: 47
; NumVGPRsForWavesPerEU: 61
; AccumOffset: 64
; Occupancy: 7
; WaveLimiterHint : 1
; COMPUTE_PGM_RSRC2:SCRATCH_EN: 0
; COMPUTE_PGM_RSRC2:USER_SGPR: 2
; COMPUTE_PGM_RSRC2:TRAP_HANDLER: 0
; COMPUTE_PGM_RSRC2:TGID_X_EN: 1
; COMPUTE_PGM_RSRC2:TGID_Y_EN: 0
; COMPUTE_PGM_RSRC2:TGID_Z_EN: 0
; COMPUTE_PGM_RSRC2:TIDIG_COMP_CNT: 0
; COMPUTE_PGM_RSRC3_GFX90A:ACCUM_OFFSET: 15
; COMPUTE_PGM_RSRC3_GFX90A:TG_SPLIT: 0
	.text
	.p2alignl 6, 3212836864
	.fill 256, 4, 3212836864
	.type	__hip_cuid_a4ddb6f3df76d833,@object ; @__hip_cuid_a4ddb6f3df76d833
	.section	.bss,"aw",@nobits
	.globl	__hip_cuid_a4ddb6f3df76d833
__hip_cuid_a4ddb6f3df76d833:
	.byte	0                               ; 0x0
	.size	__hip_cuid_a4ddb6f3df76d833, 1

	.ident	"AMD clang version 19.0.0git (https://github.com/RadeonOpenCompute/llvm-project roc-6.4.0 25133 c7fe45cf4b819c5991fe208aaa96edf142730f1d)"
	.section	".note.GNU-stack","",@progbits
	.addrsig
	.addrsig_sym __hip_cuid_a4ddb6f3df76d833
	.amdgpu_metadata
---
amdhsa.kernels:
  - .agpr_count:     0
    .args:
      - .actual_access:  read_only
        .address_space:  global
        .offset:         0
        .size:           8
        .value_kind:     global_buffer
      - .address_space:  global
        .offset:         8
        .size:           8
        .value_kind:     global_buffer
      - .offset:         16
        .size:           8
        .value_kind:     by_value
      - .actual_access:  read_only
        .address_space:  global
        .offset:         24
        .size:           8
        .value_kind:     global_buffer
      - .actual_access:  read_only
        .address_space:  global
        .offset:         32
        .size:           8
        .value_kind:     global_buffer
      - .offset:         40
        .size:           8
        .value_kind:     by_value
      - .actual_access:  read_only
        .address_space:  global
        .offset:         48
        .size:           8
        .value_kind:     global_buffer
      - .actual_access:  read_only
        .address_space:  global
        .offset:         56
        .size:           8
        .value_kind:     global_buffer
      - .offset:         64
        .size:           4
        .value_kind:     by_value
      - .actual_access:  read_only
        .address_space:  global
        .offset:         72
        .size:           8
        .value_kind:     global_buffer
      - .actual_access:  read_only
        .address_space:  global
        .offset:         80
        .size:           8
        .value_kind:     global_buffer
      - .address_space:  global
        .offset:         88
        .size:           8
        .value_kind:     global_buffer
    .group_segment_fixed_size: 0
    .kernarg_segment_align: 8
    .kernarg_segment_size: 96
    .language:       OpenCL C
    .language_version:
      - 2
      - 0
    .max_flat_workgroup_size: 392
    .name:           fft_rtc_fwd_len280_factors_8_5_7_wgs_392_tpt_56_sp_ip_CI_sbcc_twdbase6_3step_dirReg_intrinsicReadWrite
    .private_segment_fixed_size: 0
    .sgpr_count:     47
    .sgpr_spill_count: 0
    .symbol:         fft_rtc_fwd_len280_factors_8_5_7_wgs_392_tpt_56_sp_ip_CI_sbcc_twdbase6_3step_dirReg_intrinsicReadWrite.kd
    .uniform_work_group_size: 1
    .uses_dynamic_stack: false
    .vgpr_count:     61
    .vgpr_spill_count: 0
    .wavefront_size: 64
amdhsa.target:   amdgcn-amd-amdhsa--gfx950
amdhsa.version:
  - 1
  - 2
...

	.end_amdgpu_metadata
